;; amdgpu-corpus repo=ROCm/rocFFT kind=compiled arch=gfx906 opt=O3
	.text
	.amdgcn_target "amdgcn-amd-amdhsa--gfx906"
	.amdhsa_code_object_version 6
	.protected	fft_rtc_back_len1040_factors_13_16_5_wgs_208_tpt_208_halfLds_half_op_CI_CI_unitstride_sbrr_dirReg ; -- Begin function fft_rtc_back_len1040_factors_13_16_5_wgs_208_tpt_208_halfLds_half_op_CI_CI_unitstride_sbrr_dirReg
	.globl	fft_rtc_back_len1040_factors_13_16_5_wgs_208_tpt_208_halfLds_half_op_CI_CI_unitstride_sbrr_dirReg
	.p2align	8
	.type	fft_rtc_back_len1040_factors_13_16_5_wgs_208_tpt_208_halfLds_half_op_CI_CI_unitstride_sbrr_dirReg,@function
fft_rtc_back_len1040_factors_13_16_5_wgs_208_tpt_208_halfLds_half_op_CI_CI_unitstride_sbrr_dirReg: ; @fft_rtc_back_len1040_factors_13_16_5_wgs_208_tpt_208_halfLds_half_op_CI_CI_unitstride_sbrr_dirReg
; %bb.0:
	s_load_dwordx4 s[8:11], s[4:5], 0x58
	s_load_dwordx4 s[12:15], s[4:5], 0x0
	;; [unrolled: 1-line block ×3, first 2 shown]
	v_mul_u32_u24_e32 v1, 0x13c, v0
	v_add_u32_sdwa v5, s6, v1 dst_sel:DWORD dst_unused:UNUSED_PAD src0_sel:DWORD src1_sel:WORD_1
	v_mov_b32_e32 v3, 0
	s_waitcnt lgkmcnt(0)
	v_cmp_lt_u64_e64 s[0:1], s[14:15], 2
	v_mov_b32_e32 v1, 0
	v_mov_b32_e32 v6, v3
	s_and_b64 vcc, exec, s[0:1]
	v_mov_b32_e32 v2, 0
	s_cbranch_vccnz .LBB0_8
; %bb.1:
	s_load_dwordx2 s[0:1], s[4:5], 0x10
	s_add_u32 s2, s18, 8
	s_addc_u32 s3, s19, 0
	s_add_u32 s6, s16, 8
	v_mov_b32_e32 v1, 0
	s_addc_u32 s7, s17, 0
	v_mov_b32_e32 v2, 0
	s_waitcnt lgkmcnt(0)
	s_add_u32 s20, s0, 8
	v_mov_b32_e32 v8, v2
	s_addc_u32 s21, s1, 0
	s_mov_b64 s[22:23], 1
	v_mov_b32_e32 v7, v1
.LBB0_2:                                ; =>This Inner Loop Header: Depth=1
	s_load_dwordx2 s[24:25], s[20:21], 0x0
                                        ; implicit-def: $vgpr9_vgpr10
	s_waitcnt lgkmcnt(0)
	v_or_b32_e32 v4, s25, v6
	v_cmp_ne_u64_e32 vcc, 0, v[3:4]
	s_and_saveexec_b64 s[0:1], vcc
	s_xor_b64 s[26:27], exec, s[0:1]
	s_cbranch_execz .LBB0_4
; %bb.3:                                ;   in Loop: Header=BB0_2 Depth=1
	v_cvt_f32_u32_e32 v4, s24
	v_cvt_f32_u32_e32 v9, s25
	s_sub_u32 s0, 0, s24
	s_subb_u32 s1, 0, s25
	v_mac_f32_e32 v4, 0x4f800000, v9
	v_rcp_f32_e32 v4, v4
	v_mul_f32_e32 v4, 0x5f7ffffc, v4
	v_mul_f32_e32 v9, 0x2f800000, v4
	v_trunc_f32_e32 v9, v9
	v_mac_f32_e32 v4, 0xcf800000, v9
	v_cvt_u32_f32_e32 v9, v9
	v_cvt_u32_f32_e32 v4, v4
	v_mul_lo_u32 v10, s0, v9
	v_mul_hi_u32 v11, s0, v4
	v_mul_lo_u32 v13, s1, v4
	v_mul_lo_u32 v12, s0, v4
	v_add_u32_e32 v10, v11, v10
	v_add_u32_e32 v10, v10, v13
	v_mul_hi_u32 v11, v4, v12
	v_mul_lo_u32 v13, v4, v10
	v_mul_hi_u32 v15, v4, v10
	v_mul_hi_u32 v14, v9, v12
	v_mul_lo_u32 v12, v9, v12
	v_mul_hi_u32 v16, v9, v10
	v_add_co_u32_e32 v11, vcc, v11, v13
	v_addc_co_u32_e32 v13, vcc, 0, v15, vcc
	v_mul_lo_u32 v10, v9, v10
	v_add_co_u32_e32 v11, vcc, v11, v12
	v_addc_co_u32_e32 v11, vcc, v13, v14, vcc
	v_addc_co_u32_e32 v12, vcc, 0, v16, vcc
	v_add_co_u32_e32 v10, vcc, v11, v10
	v_addc_co_u32_e32 v11, vcc, 0, v12, vcc
	v_add_co_u32_e32 v4, vcc, v4, v10
	v_addc_co_u32_e32 v9, vcc, v9, v11, vcc
	v_mul_lo_u32 v10, s0, v9
	v_mul_hi_u32 v11, s0, v4
	v_mul_lo_u32 v12, s1, v4
	v_mul_lo_u32 v13, s0, v4
	v_add_u32_e32 v10, v11, v10
	v_add_u32_e32 v10, v10, v12
	v_mul_lo_u32 v14, v4, v10
	v_mul_hi_u32 v15, v4, v13
	v_mul_hi_u32 v16, v4, v10
	v_mul_hi_u32 v12, v9, v13
	v_mul_lo_u32 v13, v9, v13
	v_mul_hi_u32 v11, v9, v10
	v_add_co_u32_e32 v14, vcc, v15, v14
	v_addc_co_u32_e32 v15, vcc, 0, v16, vcc
	v_mul_lo_u32 v10, v9, v10
	v_add_co_u32_e32 v13, vcc, v14, v13
	v_addc_co_u32_e32 v12, vcc, v15, v12, vcc
	v_addc_co_u32_e32 v11, vcc, 0, v11, vcc
	v_add_co_u32_e32 v10, vcc, v12, v10
	v_addc_co_u32_e32 v11, vcc, 0, v11, vcc
	v_add_co_u32_e32 v4, vcc, v4, v10
	v_addc_co_u32_e32 v11, vcc, v9, v11, vcc
	v_mad_u64_u32 v[9:10], s[0:1], v5, v11, 0
	v_mul_hi_u32 v12, v5, v4
	v_add_co_u32_e32 v13, vcc, v12, v9
	v_addc_co_u32_e32 v14, vcc, 0, v10, vcc
	v_mad_u64_u32 v[9:10], s[0:1], v6, v4, 0
	v_mad_u64_u32 v[11:12], s[0:1], v6, v11, 0
	v_add_co_u32_e32 v4, vcc, v13, v9
	v_addc_co_u32_e32 v4, vcc, v14, v10, vcc
	v_addc_co_u32_e32 v9, vcc, 0, v12, vcc
	v_add_co_u32_e32 v4, vcc, v4, v11
	v_addc_co_u32_e32 v11, vcc, 0, v9, vcc
	v_mul_lo_u32 v12, s25, v4
	v_mul_lo_u32 v13, s24, v11
	v_mad_u64_u32 v[9:10], s[0:1], s24, v4, 0
	v_add3_u32 v10, v10, v13, v12
	v_sub_u32_e32 v12, v6, v10
	v_mov_b32_e32 v13, s25
	v_sub_co_u32_e32 v9, vcc, v5, v9
	v_subb_co_u32_e64 v12, s[0:1], v12, v13, vcc
	v_subrev_co_u32_e64 v13, s[0:1], s24, v9
	v_subbrev_co_u32_e64 v12, s[0:1], 0, v12, s[0:1]
	v_cmp_le_u32_e64 s[0:1], s25, v12
	v_cndmask_b32_e64 v14, 0, -1, s[0:1]
	v_cmp_le_u32_e64 s[0:1], s24, v13
	v_cndmask_b32_e64 v13, 0, -1, s[0:1]
	v_cmp_eq_u32_e64 s[0:1], s25, v12
	v_cndmask_b32_e64 v12, v14, v13, s[0:1]
	v_add_co_u32_e64 v13, s[0:1], 2, v4
	v_addc_co_u32_e64 v14, s[0:1], 0, v11, s[0:1]
	v_add_co_u32_e64 v15, s[0:1], 1, v4
	v_addc_co_u32_e64 v16, s[0:1], 0, v11, s[0:1]
	v_subb_co_u32_e32 v10, vcc, v6, v10, vcc
	v_cmp_ne_u32_e64 s[0:1], 0, v12
	v_cmp_le_u32_e32 vcc, s25, v10
	v_cndmask_b32_e64 v12, v16, v14, s[0:1]
	v_cndmask_b32_e64 v14, 0, -1, vcc
	v_cmp_le_u32_e32 vcc, s24, v9
	v_cndmask_b32_e64 v9, 0, -1, vcc
	v_cmp_eq_u32_e32 vcc, s25, v10
	v_cndmask_b32_e32 v9, v14, v9, vcc
	v_cmp_ne_u32_e32 vcc, 0, v9
	v_cndmask_b32_e64 v9, v15, v13, s[0:1]
	v_cndmask_b32_e32 v10, v11, v12, vcc
	v_cndmask_b32_e32 v9, v4, v9, vcc
.LBB0_4:                                ;   in Loop: Header=BB0_2 Depth=1
	s_andn2_saveexec_b64 s[0:1], s[26:27]
	s_cbranch_execz .LBB0_6
; %bb.5:                                ;   in Loop: Header=BB0_2 Depth=1
	v_cvt_f32_u32_e32 v4, s24
	s_sub_i32 s26, 0, s24
	v_rcp_iflag_f32_e32 v4, v4
	v_mul_f32_e32 v4, 0x4f7ffffe, v4
	v_cvt_u32_f32_e32 v4, v4
	v_mul_lo_u32 v9, s26, v4
	v_mul_hi_u32 v9, v4, v9
	v_add_u32_e32 v4, v4, v9
	v_mul_hi_u32 v4, v5, v4
	v_mul_lo_u32 v9, v4, s24
	v_add_u32_e32 v10, 1, v4
	v_sub_u32_e32 v9, v5, v9
	v_subrev_u32_e32 v11, s24, v9
	v_cmp_le_u32_e32 vcc, s24, v9
	v_cndmask_b32_e32 v9, v9, v11, vcc
	v_cndmask_b32_e32 v4, v4, v10, vcc
	v_add_u32_e32 v10, 1, v4
	v_cmp_le_u32_e32 vcc, s24, v9
	v_cndmask_b32_e32 v9, v4, v10, vcc
	v_mov_b32_e32 v10, v3
.LBB0_6:                                ;   in Loop: Header=BB0_2 Depth=1
	s_or_b64 exec, exec, s[0:1]
	v_mul_lo_u32 v4, v10, s24
	v_mul_lo_u32 v13, v9, s25
	v_mad_u64_u32 v[11:12], s[0:1], v9, s24, 0
	s_load_dwordx2 s[0:1], s[6:7], 0x0
	s_load_dwordx2 s[24:25], s[2:3], 0x0
	v_add3_u32 v4, v12, v13, v4
	v_sub_co_u32_e32 v5, vcc, v5, v11
	v_subb_co_u32_e32 v4, vcc, v6, v4, vcc
	s_waitcnt lgkmcnt(0)
	v_mul_lo_u32 v6, s0, v4
	v_mul_lo_u32 v11, s1, v5
	v_mad_u64_u32 v[1:2], s[0:1], s0, v5, v[1:2]
	v_mul_lo_u32 v4, s24, v4
	v_mul_lo_u32 v12, s25, v5
	v_mad_u64_u32 v[7:8], s[0:1], s24, v5, v[7:8]
	s_add_u32 s22, s22, 1
	s_addc_u32 s23, s23, 0
	s_add_u32 s2, s2, 8
	v_add3_u32 v8, v12, v8, v4
	s_addc_u32 s3, s3, 0
	v_mov_b32_e32 v4, s14
	s_add_u32 s6, s6, 8
	v_mov_b32_e32 v5, s15
	s_addc_u32 s7, s7, 0
	v_cmp_ge_u64_e32 vcc, s[22:23], v[4:5]
	s_add_u32 s20, s20, 8
	v_add3_u32 v2, v11, v2, v6
	s_addc_u32 s21, s21, 0
	s_cbranch_vccnz .LBB0_9
; %bb.7:                                ;   in Loop: Header=BB0_2 Depth=1
	v_mov_b32_e32 v5, v9
	v_mov_b32_e32 v6, v10
	s_branch .LBB0_2
.LBB0_8:
	v_mov_b32_e32 v8, v2
	v_mov_b32_e32 v10, v6
	;; [unrolled: 1-line block ×4, first 2 shown]
.LBB0_9:
	s_lshl_b64 s[14:15], s[14:15], 3
	s_load_dwordx2 s[0:1], s[4:5], 0x28
	s_add_u32 s2, s18, s14
	s_mov_b32 s3, 0x13b13b2
	v_mul_hi_u32 v3, v0, s3
	s_addc_u32 s3, s19, s15
	s_load_dwordx2 s[4:5], s[2:3], 0x0
	s_waitcnt lgkmcnt(0)
	v_cmp_gt_u64_e32 vcc, s[0:1], v[9:10]
	v_mul_u32_u24_e32 v3, 0xd0, v3
	v_sub_u32_e32 v11, v0, v3
	v_mov_b32_e32 v4, 0
	v_mov_b32_e32 v3, 0
	;; [unrolled: 1-line block ×3, first 2 shown]
                                        ; implicit-def: $vgpr38
                                        ; implicit-def: $vgpr5
                                        ; implicit-def: $vgpr36
                                        ; implicit-def: $vgpr6
                                        ; implicit-def: $vgpr35
                                        ; implicit-def: $vgpr13
                                        ; implicit-def: $vgpr34
                                        ; implicit-def: $vgpr14
                                        ; implicit-def: $vgpr31
                                        ; implicit-def: $vgpr21
                                        ; implicit-def: $vgpr30
                                        ; implicit-def: $vgpr23
                                        ; implicit-def: $vgpr32
                                        ; implicit-def: $vgpr24
                                        ; implicit-def: $vgpr37
                                        ; implicit-def: $vgpr25
                                        ; implicit-def: $vgpr39
                                        ; implicit-def: $vgpr26
                                        ; implicit-def: $vgpr40
                                        ; implicit-def: $vgpr27
                                        ; implicit-def: $vgpr41
                                        ; implicit-def: $vgpr29
                                        ; implicit-def: $vgpr43
                                        ; implicit-def: $vgpr33
	s_and_saveexec_b64 s[2:3], vcc
	s_cbranch_execz .LBB0_13
; %bb.10:
	s_movk_i32 s0, 0x50
	v_cmp_gt_u32_e64 s[0:1], s0, v11
	v_mov_b32_e32 v3, 0
	v_mov_b32_e32 v4, 0
                                        ; implicit-def: $vgpr33
                                        ; implicit-def: $vgpr43
                                        ; implicit-def: $vgpr29
                                        ; implicit-def: $vgpr41
                                        ; implicit-def: $vgpr27
                                        ; implicit-def: $vgpr40
                                        ; implicit-def: $vgpr26
                                        ; implicit-def: $vgpr39
                                        ; implicit-def: $vgpr25
                                        ; implicit-def: $vgpr37
                                        ; implicit-def: $vgpr24
                                        ; implicit-def: $vgpr32
                                        ; implicit-def: $vgpr23
                                        ; implicit-def: $vgpr30
                                        ; implicit-def: $vgpr21
                                        ; implicit-def: $vgpr31
                                        ; implicit-def: $vgpr14
                                        ; implicit-def: $vgpr34
                                        ; implicit-def: $vgpr13
                                        ; implicit-def: $vgpr35
                                        ; implicit-def: $vgpr6
                                        ; implicit-def: $vgpr36
                                        ; implicit-def: $vgpr5
                                        ; implicit-def: $vgpr38
	s_and_saveexec_b64 s[6:7], s[0:1]
	s_cbranch_execz .LBB0_12
; %bb.11:
	s_add_u32 s0, s16, s14
	s_addc_u32 s1, s17, s15
	s_load_dwordx2 s[0:1], s[0:1], 0x0
	v_mov_b32_e32 v6, s9
	v_mov_b32_e32 v12, 0
	s_waitcnt lgkmcnt(0)
	v_mul_lo_u32 v0, s1, v9
	v_mul_lo_u32 v5, s0, v10
	v_mad_u64_u32 v[3:4], s[0:1], s0, v9, 0
	v_add3_u32 v4, v4, v5, v0
	v_lshlrev_b64 v[3:4], 2, v[3:4]
	v_lshlrev_b64 v[0:1], 2, v[1:2]
	v_add_co_u32_e64 v3, s[0:1], s8, v3
	v_addc_co_u32_e64 v4, s[0:1], v6, v4, s[0:1]
	v_add_co_u32_e64 v2, s[0:1], v3, v0
	v_addc_co_u32_e64 v3, s[0:1], v4, v1, s[0:1]
	v_lshlrev_b64 v[0:1], 2, v[11:12]
	v_add_co_u32_e64 v0, s[0:1], v2, v0
	v_addc_co_u32_e64 v1, s[0:1], v3, v1, s[0:1]
	global_load_dword v3, v[0:1], off
	global_load_dword v5, v[0:1], off offset:320
	global_load_dword v6, v[0:1], off offset:640
	;; [unrolled: 1-line block ×12, first 2 shown]
	s_waitcnt vmcnt(12)
	v_lshrrev_b32_e32 v4, 16, v3
	s_waitcnt vmcnt(11)
	v_lshrrev_b32_e32 v38, 16, v5
	;; [unrolled: 2-line block ×13, first 2 shown]
.LBB0_12:
	s_or_b64 exec, exec, s[6:7]
	v_mov_b32_e32 v12, v11
.LBB0_13:
	s_or_b64 exec, exec, s[2:3]
	v_sub_f16_e32 v2, v38, v43
	s_mov_b32 s1, 0xba95b770
	v_add_f16_e32 v15, v5, v33
	s_mov_b32 s0, 0x388b3b15
	v_pk_mul_f16 v17, v2, s1 op_sel_hi:[0,1]
	s_mov_b32 s2, 0xbb7bba95
	v_sub_f16_e32 v18, v36, v41
	v_add_f16_e32 v16, v6, v29
	v_pk_fma_f16 v0, v15, s0, v17 op_sel_hi:[0,1,1]
	s_mov_b32 s1, 0xb5ac388b
	v_pk_mul_f16 v19, v18, s2 op_sel_hi:[0,1]
	s_mov_b32 s3, 0xb3a8bbf1
	v_sub_f16_e32 v22, v35, v40
	v_pk_add_f16 v0, v3, v0 op_sel_hi:[0,1]
	v_pk_fma_f16 v1, v16, s1, v19 op_sel_hi:[0,1,1]
	s_mov_b32 s2, 0xbbc42fb7
	v_add_f16_e32 v20, v13, v27
	v_pk_mul_f16 v28, v22, s3 op_sel_hi:[0,1]
	s_mov_b32 s6, 0x394ebb7b
	v_sub_f16_e32 v42, v34, v39
	v_pk_add_f16 v0, v1, v0
	v_pk_fma_f16 v1, v20, s2, v28 op_sel_hi:[0,1,1]
	s_mov_b32 s3, 0xb9fdb5ac
	v_add_f16_e32 v44, v14, v26
	v_pk_mul_f16 v45, v42, s6 op_sel_hi:[0,1]
	s_mov_b32 s7, 0x3bf1b94e
	v_sub_f16_e32 v47, v31, v37
	v_pk_add_f16 v0, v1, v0
	v_pk_fma_f16 v1, v44, s3, v45 op_sel_hi:[0,1,1]
	s_mov_b32 s6, 0x2fb7b9fd
	v_add_f16_e32 v46, v21, v25
	v_pk_mul_f16 v48, v47, s7 op_sel_hi:[0,1]
	s_mov_b32 s8, 0xbb7bbbf1
	v_pk_add_f16 v0, v1, v0
	v_pk_fma_f16 v1, v46, s6, v48 op_sel_hi:[0,1,1]
	s_mov_b32 s7, 0xb5ac2fb7
	v_pk_mul_f16 v49, v2, s8 op_sel_hi:[0,1]
	s_mov_b32 s9, 0x394eb3a8
	v_pk_add_f16 v0, v1, v0
	v_pk_fma_f16 v1, v15, s7, v49 op_sel_hi:[0,1,1]
	s_mov_b32 s8, 0xb9fdbbc4
	v_pk_mul_f16 v50, v18, s9 op_sel_hi:[0,1]
	v_pk_add_f16 v1, v3, v1 op_sel_hi:[0,1]
	v_pk_fma_f16 v51, v16, s8, v50 op_sel_hi:[0,1,1]
	s_mov_b32 s14, 0x37703b7b
	v_pk_add_f16 v1, v51, v1
	s_mov_b32 s9, 0x3b15b5ac
	v_pk_mul_f16 v51, v22, s14 op_sel_hi:[0,1]
	v_pk_fma_f16 v52, v20, s9, v51 op_sel_hi:[0,1,1]
	s_mov_b32 s15, 0xbbf13770
	v_pk_add_f16 v1, v52, v1
	s_mov_b32 s14, 0x2fb73b15
	v_pk_mul_f16 v52, v42, s15 op_sel_hi:[0,1]
	v_pk_fma_f16 v53, v44, s14, v52 op_sel_hi:[0,1,1]
	s_mov_b32 s16, 0x33a8ba95
	v_pk_fma_f16 v17, v15, s0, v17 op_sel_hi:[0,1,1] neg_lo:[0,0,1] neg_hi:[0,0,1]
	v_pk_add_f16 v1, v53, v1
	s_mov_b32 s15, 0xbbc4388b
	v_pk_mul_f16 v53, v47, s16 op_sel_hi:[0,1]
	v_pk_add_f16 v17, v3, v17 op_sel_hi:[0,1]
	v_pk_fma_f16 v19, v16, s1, v19 op_sel_hi:[0,1,1] neg_lo:[0,0,1] neg_hi:[0,0,1]
	v_pk_fma_f16 v54, v46, s15, v53 op_sel_hi:[0,1,1]
	s_mov_b32 s17, 0x3770b3a8
	v_sub_f16_e32 v55, v30, v32
	v_pk_add_f16 v17, v19, v17
	v_pk_fma_f16 v19, v20, s2, v28 op_sel_hi:[0,1,1] neg_lo:[0,0,1] neg_hi:[0,0,1]
	v_pk_add_f16 v1, v54, v1
	s_mov_b32 s16, 0x3b15bbc4
	s_mov_b32 s19, 0x3a95b94e
	v_add_f16_e32 v54, v23, v24
	v_pk_mul_f16 v56, v55, s17 op_sel_hi:[0,1]
	v_pk_add_f16 v17, v19, v17
	v_pk_fma_f16 v19, v44, s3, v45 op_sel_hi:[0,1,1] neg_lo:[0,0,1] neg_hi:[0,0,1]
	v_pk_fma_f16 v57, v54, s16, v56 op_sel_hi:[0,1,1]
	v_pk_mul_f16 v58, v55, s19 op_sel_hi:[0,1]
	s_mov_b32 s19, 0xb3a8b94e
	v_pk_add_f16 v17, v19, v17
	v_pk_fma_f16 v19, v46, s6, v48 op_sel_hi:[0,1,1] neg_lo:[0,0,1] neg_hi:[0,0,1]
	v_pk_add_f16 v0, v57, v0
	s_mov_b32 s17, 0xbbc4b9fd
	v_pk_mul_f16 v57, v2, s19 op_sel_hi:[0,1]
	v_pk_add_f16 v17, v19, v17
	v_pk_fma_f16 v19, v54, s16, v56 op_sel_hi:[0,1,1] neg_lo:[0,0,1] neg_hi:[0,0,1]
	v_pk_fma_f16 v2, v15, s17, v57 op_sel_hi:[0,1,1]
	v_pk_add_f16 v28, v19, v17
	v_pk_fma_f16 v17, v15, s7, v49 op_sel_hi:[0,1,1] neg_lo:[0,0,1] neg_hi:[0,0,1]
	v_pk_fma_f16 v15, v15, s17, v57 op_sel_hi:[0,1,1] neg_lo:[0,0,1] neg_hi:[0,0,1]
	v_pk_add_f16 v2, v3, v2 op_sel_hi:[0,1]
	v_pk_add_f16 v17, v3, v17 op_sel_hi:[0,1]
	;; [unrolled: 1-line block ×3, first 2 shown]
	v_add_f16_e32 v3, v3, v5
	v_add_f16_e32 v3, v3, v6
	;; [unrolled: 1-line block ×3, first 2 shown]
	s_mov_b32 s18, 0x388bb9fd
	s_mov_b32 s20, 0x37703bf1
	v_add_f16_e32 v3, v3, v14
	v_pk_fma_f16 v59, v54, s18, v58 op_sel_hi:[0,1,1]
	s_mov_b32 s19, 0x3b152fb7
	v_pk_mul_f16 v18, v18, s20 op_sel_hi:[0,1]
	s_mov_b32 s21, 0xb94eba95
	v_add_f16_e32 v3, v3, v21
	v_pk_add_f16 v1, v59, v1
	v_pk_fma_f16 v59, v16, s19, v18 op_sel_hi:[0,1,1]
	s_mov_b32 s20, 0xb9fd388b
	v_pk_mul_f16 v22, v22, s21 op_sel_hi:[0,1]
	v_add_f16_e32 v3, v3, v23
	v_pk_add_f16 v2, v59, v2
	v_pk_fma_f16 v59, v20, s20, v22 op_sel_hi:[0,1,1]
	s_mov_b32 s22, 0x3a9533a8
	v_pk_fma_f16 v19, v16, s8, v50 op_sel_hi:[0,1,1] neg_lo:[0,0,1] neg_hi:[0,0,1]
	v_pk_fma_f16 v16, v16, s19, v18 op_sel_hi:[0,1,1] neg_lo:[0,0,1] neg_hi:[0,0,1]
	v_add_f16_e32 v3, v3, v24
	v_pk_add_f16 v2, v59, v2
	s_mov_b32 s21, 0x388bbbc4
	v_pk_mul_f16 v59, v42, s22 op_sel_hi:[0,1]
	s_mov_b32 s23, 0xbb7b3770
	v_pk_add_f16 v17, v19, v17
	v_pk_fma_f16 v19, v20, s9, v51 op_sel_hi:[0,1,1] neg_lo:[0,0,1] neg_hi:[0,0,1]
	v_pk_add_f16 v15, v16, v15
	v_pk_fma_f16 v16, v20, s20, v22 op_sel_hi:[0,1,1] neg_lo:[0,0,1] neg_hi:[0,0,1]
	v_add_f16_e32 v3, v3, v25
	v_pk_fma_f16 v42, v44, s21, v59 op_sel_hi:[0,1,1]
	s_mov_b32 s22, 0xb5ac3b15
	v_pk_mul_f16 v47, v47, s23 op_sel_hi:[0,1]
	s_mov_b32 s24, 0x3bf1bb7b
	v_pk_add_f16 v17, v19, v17
	v_pk_fma_f16 v19, v44, s14, v52 op_sel_hi:[0,1,1] neg_lo:[0,0,1] neg_hi:[0,0,1]
	v_pk_add_f16 v15, v16, v15
	v_pk_fma_f16 v16, v44, s21, v59 op_sel_hi:[0,1,1] neg_lo:[0,0,1] neg_hi:[0,0,1]
	v_add_f16_e32 v3, v3, v26
	v_pk_add_f16 v2, v42, v2
	v_pk_fma_f16 v42, v46, s22, v47 op_sel_hi:[0,1,1]
	s_mov_b32 s23, 0x2fb7b5ac
	v_pk_mul_f16 v55, v55, s24 op_sel_hi:[0,1]
	v_pk_add_f16 v17, v19, v17
	v_pk_fma_f16 v19, v46, s15, v53 op_sel_hi:[0,1,1] neg_lo:[0,0,1] neg_hi:[0,0,1]
	v_pk_add_f16 v15, v16, v15
	v_pk_fma_f16 v16, v46, s22, v47 op_sel_hi:[0,1,1] neg_lo:[0,0,1] neg_hi:[0,0,1]
	v_add_f16_e32 v3, v3, v27
	v_pk_add_f16 v2, v42, v2
	v_pk_fma_f16 v42, v54, s23, v55 op_sel_hi:[0,1,1]
	v_pk_add_f16 v17, v19, v17
	v_pk_fma_f16 v19, v54, s18, v58 op_sel_hi:[0,1,1] neg_lo:[0,0,1] neg_hi:[0,0,1]
	v_pk_add_f16 v15, v16, v15
	v_pk_fma_f16 v16, v54, s23, v55 op_sel_hi:[0,1,1] neg_lo:[0,0,1] neg_hi:[0,0,1]
	v_add_f16_e32 v3, v3, v29
	s_movk_i32 s0, 0x50
	v_pk_add_f16 v2, v42, v2
	v_pk_add_f16 v42, v19, v17
	;; [unrolled: 1-line block ×3, first 2 shown]
	v_add_f16_e32 v17, v3, v33
	v_cmp_gt_u32_e64 s[2:3], s0, v11
	v_mad_u32_u24 v44, v11, 26, 0
	s_and_saveexec_b64 s[0:1], s[2:3]
	s_cbranch_execz .LBB0_15
; %bb.14:
	v_alignbit_b32 v3, v16, v16, 16
	v_alignbit_b32 v18, v42, v42, 16
	;; [unrolled: 1-line block ×3, first 2 shown]
	ds_write_b16 v44, v17
	ds_write_b128 v44, v[0:3] offset:2
	ds_write_b64 v44, v[18:19] offset:18
.LBB0_15:
	s_or_b64 exec, exec, s[0:1]
	s_movk_i32 s0, 0x41
	v_cmp_gt_u32_e64 s[0:1], s0, v11
	v_lshl_add_u32 v15, v11, 1, 0
	s_waitcnt lgkmcnt(0)
	s_barrier
	s_waitcnt lgkmcnt(0)
                                        ; implicit-def: $vgpr22
                                        ; implicit-def: $vgpr20
                                        ; implicit-def: $vgpr19
	s_and_saveexec_b64 s[6:7], s[0:1]
	s_cbranch_execz .LBB0_17
; %bb.16:
	ds_read_u16 v17, v15
	ds_read_u16 v0, v15 offset:130
	ds_read_u16 v1, v15 offset:260
	;; [unrolled: 1-line block ×15, first 2 shown]
	s_mov_b32 s8, 0x5040100
	s_waitcnt lgkmcnt(13)
	v_perm_b32 v0, v1, v0, s8
	s_waitcnt lgkmcnt(11)
	v_perm_b32 v1, v3, v2, s8
	s_waitcnt lgkmcnt(9)
	v_perm_b32 v2, v18, v16, s8
	s_waitcnt lgkmcnt(7)
	v_perm_b32 v16, v28, v42, s8
	s_waitcnt lgkmcnt(5)
	v_perm_b32 v42, v45, v46, s8
	s_waitcnt lgkmcnt(3)
	v_perm_b32 v28, v47, v48, s8
.LBB0_17:
	s_or_b64 exec, exec, s[6:7]
	v_add_f16_e32 v3, v4, v38
	v_add_f16_e32 v3, v3, v36
	;; [unrolled: 1-line block ×11, first 2 shown]
	v_sub_f16_e32 v5, v5, v33
	s_mov_b32 s7, 0xba95bbf1
	v_add_f16_e32 v18, v3, v43
	v_add_f16_e32 v38, v38, v43
	v_sub_f16_e32 v6, v6, v29
	s_mov_b32 s6, 0x388b2fb7
	v_pk_mul_f16 v3, v5, s7 op_sel_hi:[0,1]
	s_mov_b32 s8, 0xbb7bb3a8
	v_add_f16_e32 v33, v36, v41
	v_sub_f16_e32 v27, v13, v27
	v_sub_f16_e32 v26, v14, v26
	v_pk_fma_f16 v13, v38, s6, v3 op_sel_hi:[0,1,1]
	s_mov_b32 s7, 0xb5acbbc4
	v_pk_mul_f16 v14, v6, s8 op_sel_hi:[0,1]
	v_sub_f16_e32 v23, v23, v24
	v_pk_add_f16 v13, v4, v13 op_sel_hi:[0,1]
	v_pk_fma_f16 v24, v33, s7, v14 op_sel_hi:[0,1,1]
	s_mov_b32 s9, 0xb3a83b7b
	v_add_f16_e32 v35, v35, v40
	v_pk_add_f16 v13, v24, v13
	s_mov_b32 s8, 0xbbc4b5ac
	v_pk_mul_f16 v24, v27, s9 op_sel_hi:[0,1]
	v_pk_fma_f16 v29, v35, s8, v24 op_sel_hi:[0,1,1]
	s_mov_b32 s14, 0x394e3770
	v_add_f16_e32 v34, v34, v39
	v_pk_add_f16 v13, v29, v13
	s_mov_b32 s9, 0xb9fd3b15
	v_pk_mul_f16 v29, v26, s14 op_sel_hi:[0,1]
	v_pk_fma_f16 v3, v38, s6, v3 op_sel_hi:[0,1,1] neg_lo:[0,0,1] neg_hi:[0,0,1]
	v_sub_f16_e32 v21, v21, v25
	v_add_f16_e32 v25, v30, v32
	v_pk_fma_f16 v30, v34, s9, v29 op_sel_hi:[0,1,1]
	s_mov_b32 s15, 0x3bf1ba95
	v_pk_add_f16 v3, v4, v3 op_sel_hi:[0,1]
	v_pk_fma_f16 v14, v33, s7, v14 op_sel_hi:[0,1,1] neg_lo:[0,0,1] neg_hi:[0,0,1]
	v_add_f16_e32 v31, v31, v37
	v_pk_add_f16 v13, v30, v13
	s_mov_b32 s14, 0x2fb7388b
	v_pk_mul_f16 v30, v21, s15 op_sel_hi:[0,1]
	v_pk_add_f16 v3, v14, v3
	v_pk_fma_f16 v14, v35, s8, v24 op_sel_hi:[0,1,1] neg_lo:[0,0,1] neg_hi:[0,0,1]
	v_pk_fma_f16 v32, v31, s14, v30 op_sel_hi:[0,1,1]
	s_mov_b32 s16, 0x3770b94e
	v_pk_add_f16 v3, v14, v3
	v_pk_fma_f16 v14, v34, s9, v29 op_sel_hi:[0,1,1] neg_lo:[0,0,1] neg_hi:[0,0,1]
	v_pk_add_f16 v13, v32, v13
	s_mov_b32 s15, 0x3b15b9fd
	v_pk_mul_f16 v32, v23, s16 op_sel_hi:[0,1]
	v_pk_add_f16 v3, v14, v3
	v_pk_fma_f16 v14, v31, s14, v30 op_sel_hi:[0,1,1] neg_lo:[0,0,1] neg_hi:[0,0,1]
	v_pk_fma_f16 v36, v25, s15, v32 op_sel_hi:[0,1,1]
	v_pk_add_f16 v3, v14, v3
	v_pk_fma_f16 v14, v25, s15, v32 op_sel_hi:[0,1,1] neg_lo:[0,0,1] neg_hi:[0,0,1]
	s_mov_b32 s7, 0xbb7bb94e
	v_pk_add_f16 v3, v14, v3
	v_pk_add_f16 v14, v36, v13
	s_mov_b32 s6, 0xb5acb9fd
	v_pk_mul_f16 v13, v5, s7 op_sel_hi:[0,1]
	s_mov_b32 s9, 0x394e3bf1
	v_pk_fma_f16 v24, v38, s6, v13 op_sel_hi:[0,1,1]
	s_mov_b32 s8, 0xb9fd2fb7
	v_pk_mul_f16 v29, v6, s9 op_sel_hi:[0,1]
	v_pk_add_f16 v24, v4, v24 op_sel_hi:[0,1]
	v_pk_fma_f16 v30, v33, s8, v29 op_sel_hi:[0,1,1]
	s_mov_b32 s14, 0x3770ba95
	v_pk_add_f16 v24, v30, v24
	s_mov_b32 s9, 0x3b15388b
	v_pk_mul_f16 v30, v27, s14 op_sel_hi:[0,1]
	v_pk_fma_f16 v32, v35, s9, v30 op_sel_hi:[0,1,1]
	s_mov_b32 s16, 0xbbf133a8
	v_pk_add_f16 v24, v32, v24
	s_mov_b32 s15, 0x2fb7bbc4
	v_pk_mul_f16 v32, v26, s16 op_sel_hi:[0,1]
	v_pk_fma_f16 v13, v38, s6, v13 op_sel_hi:[0,1,1] neg_lo:[0,0,1] neg_hi:[0,0,1]
	v_pk_fma_f16 v36, v34, s15, v32 op_sel_hi:[0,1,1]
	s_mov_b32 s17, 0x33a83770
	v_pk_add_f16 v13, v4, v13 op_sel_hi:[0,1]
	v_pk_fma_f16 v29, v33, s8, v29 op_sel_hi:[0,1,1] neg_lo:[0,0,1] neg_hi:[0,0,1]
	v_pk_add_f16 v24, v36, v24
	s_mov_b32 s16, 0xbbc43b15
	v_pk_mul_f16 v36, v21, s17 op_sel_hi:[0,1]
	v_pk_add_f16 v13, v29, v13
	v_pk_fma_f16 v29, v35, s9, v30 op_sel_hi:[0,1,1] neg_lo:[0,0,1] neg_hi:[0,0,1]
	v_pk_fma_f16 v37, v31, s16, v36 op_sel_hi:[0,1,1]
	s_mov_b32 s18, 0x3a95bb7b
	v_pk_add_f16 v13, v29, v13
	v_pk_fma_f16 v29, v34, s15, v32 op_sel_hi:[0,1,1] neg_lo:[0,0,1] neg_hi:[0,0,1]
	v_pk_add_f16 v24, v37, v24
	s_mov_b32 s17, 0x388bb5ac
	v_pk_mul_f16 v37, v23, s18 op_sel_hi:[0,1]
	v_pk_add_f16 v13, v29, v13
	v_pk_fma_f16 v29, v31, s16, v36 op_sel_hi:[0,1,1] neg_lo:[0,0,1] neg_hi:[0,0,1]
	s_mov_b32 s19, 0xb3a8b770
	v_pk_fma_f16 v39, v25, s17, v37 op_sel_hi:[0,1,1]
	v_pk_add_f16 v13, v29, v13
	v_pk_fma_f16 v29, v25, s17, v37 op_sel_hi:[0,1,1] neg_lo:[0,0,1] neg_hi:[0,0,1]
	v_pk_mul_f16 v5, v5, s19 op_sel_hi:[0,1]
	v_pk_add_f16 v29, v29, v13
	v_pk_add_f16 v13, v39, v24
	v_pk_fma_f16 v24, v38, s16, v5 op_sel_hi:[0,1,1] neg_lo:[0,0,1] neg_hi:[0,0,1]
	v_pk_fma_f16 v5, v38, s16, v5 op_sel_hi:[0,1,1]
	v_add_f16_e32 v30, v4, v24
	v_add_f16_sdwa v24, v4, v24 dst_sel:DWORD dst_unused:UNUSED_PAD src0_sel:DWORD src1_sel:WORD_1
	v_pk_add_f16 v4, v4, v5 op_sel_hi:[0,1]
	v_pk_mul_f16 v5, v6, s14 op_sel_hi:[0,1]
	v_pk_fma_f16 v6, v33, s9, v5 op_sel_hi:[0,1,1] neg_lo:[0,0,1] neg_hi:[0,0,1]
	v_pk_fma_f16 v5, v33, s9, v5 op_sel_hi:[0,1,1]
	s_mov_b32 s9, 0xb94ebbf1
	v_pk_add_f16 v4, v5, v4
	v_pk_mul_f16 v5, v27, s9 op_sel_hi:[0,1]
	v_add_f16_e32 v30, v6, v30
	v_add_f16_sdwa v6, v6, v24 dst_sel:DWORD dst_unused:UNUSED_PAD src0_sel:WORD_1 src1_sel:DWORD
	v_pk_fma_f16 v24, v35, s8, v5 op_sel_hi:[0,1,1] neg_lo:[0,0,1] neg_hi:[0,0,1]
	v_pk_fma_f16 v5, v35, s8, v5 op_sel_hi:[0,1,1]
	v_pk_add_f16 v4, v5, v4
	v_pk_mul_f16 v5, v26, s18 op_sel_hi:[0,1]
	v_add_f16_e32 v27, v24, v30
	v_add_f16_sdwa v6, v24, v6 dst_sel:DWORD dst_unused:UNUSED_PAD src0_sel:WORD_1 src1_sel:DWORD
	v_pk_fma_f16 v24, v34, s17, v5 op_sel_hi:[0,1,1] neg_lo:[0,0,1] neg_hi:[0,0,1]
	v_pk_fma_f16 v5, v34, s17, v5 op_sel_hi:[0,1,1]
	;; [unrolled: 6-line block ×3, first 2 shown]
	s_mov_b32 s6, 0x3bf1b3a8
	v_add_f16_e32 v24, v21, v26
	v_add_f16_sdwa v6, v21, v6 dst_sel:DWORD dst_unused:UNUSED_PAD src0_sel:WORD_1 src1_sel:DWORD
	v_pk_mul_f16 v21, v23, s6 op_sel_hi:[0,1]
	v_pk_add_f16 v5, v5, v4
	v_pk_fma_f16 v23, v25, s15, v21 op_sel_hi:[0,1,1] neg_lo:[0,0,1] neg_hi:[0,0,1]
	v_pk_fma_f16 v21, v25, s15, v21 op_sel_hi:[0,1,1]
	v_add_f16_e32 v4, v23, v24
	v_add_f16_sdwa v30, v23, v6 dst_sel:DWORD dst_unused:UNUSED_PAD src0_sel:WORD_1 src1_sel:DWORD
	v_pk_add_f16 v27, v21, v5
	s_waitcnt lgkmcnt(0)
	s_barrier
	s_and_saveexec_b64 s[6:7], s[2:3]
	s_cbranch_execz .LBB0_19
; %bb.18:
	s_mov_b32 s2, 0xffff
	v_bfi_b32 v26, s2, v30, v27
	s_mov_b32 s2, 0x5040100
	v_perm_b32 v23, v4, v18, s2
	v_alignbit_b32 v25, v29, v29, 16
	v_alignbit_b32 v24, v3, v3, 16
	ds_write_b128 v44, v[23:26]
	ds_write_b64 v44, v[13:14] offset:16
	ds_write_b16 v44, v27 offset:24
.LBB0_19:
	s_or_b64 exec, exec, s[6:7]
	s_waitcnt lgkmcnt(0)
	s_barrier
	s_waitcnt lgkmcnt(0)
                                        ; implicit-def: $vgpr26
                                        ; implicit-def: $vgpr25
                                        ; implicit-def: $vgpr24
	s_and_saveexec_b64 s[2:3], s[0:1]
	s_cbranch_execz .LBB0_21
; %bb.20:
	ds_read_u16 v18, v15
	ds_read_u16 v4, v15 offset:130
	ds_read_u16 v3, v15 offset:260
	;; [unrolled: 1-line block ×15, first 2 shown]
	s_mov_b32 s6, 0x5040100
	s_waitcnt lgkmcnt(6)
	v_perm_b32 v13, v14, v13, s6
	s_waitcnt lgkmcnt(4)
	v_perm_b32 v14, v29, v27, s6
	;; [unrolled: 2-line block ×3, first 2 shown]
	v_perm_b32 v29, v6, v21, s6
	v_perm_b32 v3, v3, v5, s6
.LBB0_21:
	s_or_b64 exec, exec, s[2:3]
	s_movk_i32 s2, 0x4f
	v_mul_lo_u16_sdwa v5, v11, s2 dst_sel:DWORD dst_unused:UNUSED_PAD src0_sel:BYTE_0 src1_sel:DWORD
	v_lshrrev_b16_e32 v21, 10, v5
	v_mul_lo_u16_e32 v5, 13, v21
	v_sub_u16_e32 v23, v11, v5
	v_mov_b32_e32 v5, 15
	v_mul_u32_u24_sdwa v5, v23, v5 dst_sel:DWORD dst_unused:UNUSED_PAD src0_sel:BYTE_0 src1_sel:DWORD
	v_lshlrev_b32_e32 v35, 2, v5
	global_load_dwordx4 v[31:34], v35, s[12:13]
	v_lshrrev_b32_e32 v44, 16, v13
	v_lshrrev_b32_e32 v43, 16, v42
	s_mov_b32 s3, 0xb9a8
	s_movk_i32 s2, 0x39a8
	s_waitcnt vmcnt(0)
	v_mul_f16_sdwa v5, v4, v31 dst_sel:DWORD dst_unused:UNUSED_PAD src0_sel:DWORD src1_sel:WORD_1
	v_fma_f16 v36, v0, v31, v5
	v_mul_f16_sdwa v5, v0, v31 dst_sel:DWORD dst_unused:UNUSED_PAD src0_sel:DWORD src1_sel:WORD_1
	v_fma_f16 v31, v4, v31, -v5
	v_lshrrev_b32_e32 v4, 16, v3
	v_lshrrev_b32_e32 v0, 16, v0
	v_mul_f16_sdwa v5, v4, v32 dst_sel:DWORD dst_unused:UNUSED_PAD src0_sel:DWORD src1_sel:WORD_1
	v_fma_f16 v37, v0, v32, v5
	v_mul_f16_sdwa v0, v0, v32 dst_sel:DWORD dst_unused:UNUSED_PAD src0_sel:DWORD src1_sel:WORD_1
	v_fma_f16 v32, v4, v32, -v0
	v_mul_f16_sdwa v0, v3, v33 dst_sel:DWORD dst_unused:UNUSED_PAD src0_sel:DWORD src1_sel:WORD_1
	v_fma_f16 v38, v1, v33, v0
	v_mul_f16_sdwa v0, v1, v33 dst_sel:DWORD dst_unused:UNUSED_PAD src0_sel:DWORD src1_sel:WORD_1
	v_fma_f16 v33, v3, v33, -v0
	v_lshrrev_b32_e32 v3, 16, v29
	v_lshrrev_b32_e32 v0, 16, v1
	v_mul_f16_sdwa v1, v3, v34 dst_sel:DWORD dst_unused:UNUSED_PAD src0_sel:DWORD src1_sel:WORD_1
	v_fma_f16 v1, v0, v34, v1
	v_mul_f16_sdwa v0, v0, v34 dst_sel:DWORD dst_unused:UNUSED_PAD src0_sel:DWORD src1_sel:WORD_1
	v_fma_f16 v0, v3, v34, -v0
	global_load_dwordx4 v[3:6], v35, s[12:13] offset:16
	s_waitcnt vmcnt(0)
	v_mul_f16_sdwa v34, v29, v3 dst_sel:DWORD dst_unused:UNUSED_PAD src0_sel:DWORD src1_sel:WORD_1
	v_mul_f16_sdwa v39, v2, v3 dst_sel:DWORD dst_unused:UNUSED_PAD src0_sel:DWORD src1_sel:WORD_1
	v_fma_f16 v34, v2, v3, v34
	v_fma_f16 v29, v29, v3, -v39
	v_lshrrev_b32_e32 v2, 16, v2
	v_mul_f16_sdwa v3, v30, v4 dst_sel:DWORD dst_unused:UNUSED_PAD src0_sel:DWORD src1_sel:WORD_1
	v_fma_f16 v39, v2, v4, v3
	v_mul_f16_sdwa v2, v2, v4 dst_sel:DWORD dst_unused:UNUSED_PAD src0_sel:DWORD src1_sel:WORD_1
	v_lshrrev_b32_e32 v3, 16, v27
	v_fma_f16 v30, v30, v4, -v2
	v_lshrrev_b32_e32 v2, 16, v16
	v_mul_f16_sdwa v4, v3, v5 dst_sel:DWORD dst_unused:UNUSED_PAD src0_sel:DWORD src1_sel:WORD_1
	v_fma_f16 v40, v2, v5, v4
	v_mul_f16_sdwa v2, v2, v5 dst_sel:DWORD dst_unused:UNUSED_PAD src0_sel:DWORD src1_sel:WORD_1
	v_fma_f16 v41, v3, v5, -v2
	global_load_dwordx4 v[2:5], v35, s[12:13] offset:32
	s_waitcnt vmcnt(0)
	v_mul_f16_sdwa v45, v44, v2 dst_sel:DWORD dst_unused:UNUSED_PAD src0_sel:DWORD src1_sel:WORD_1
	v_fma_f16 v45, v43, v2, v45
	v_mul_f16_sdwa v43, v43, v2 dst_sel:DWORD dst_unused:UNUSED_PAD src0_sel:DWORD src1_sel:WORD_1
	v_fma_f16 v43, v44, v2, -v43
	v_mul_f16_sdwa v2, v14, v3 dst_sel:DWORD dst_unused:UNUSED_PAD src0_sel:DWORD src1_sel:WORD_1
	v_fma_f16 v44, v42, v3, v2
	v_mul_f16_sdwa v2, v42, v3 dst_sel:DWORD dst_unused:UNUSED_PAD src0_sel:DWORD src1_sel:WORD_1
	v_fma_f16 v42, v14, v3, -v2
	v_lshrrev_b32_e32 v3, 16, v14
	v_lshrrev_b32_e32 v2, 16, v28
	v_mul_f16_sdwa v14, v3, v4 dst_sel:DWORD dst_unused:UNUSED_PAD src0_sel:DWORD src1_sel:WORD_1
	v_fma_f16 v14, v2, v4, v14
	v_mul_f16_sdwa v2, v2, v4 dst_sel:DWORD dst_unused:UNUSED_PAD src0_sel:DWORD src1_sel:WORD_1
	v_fma_f16 v46, v3, v4, -v2
	v_mul_f16_sdwa v2, v27, v5 dst_sel:DWORD dst_unused:UNUSED_PAD src0_sel:DWORD src1_sel:WORD_1
	v_fma_f16 v47, v28, v5, v2
	v_mul_f16_sdwa v2, v28, v5 dst_sel:DWORD dst_unused:UNUSED_PAD src0_sel:DWORD src1_sel:WORD_1
	v_fma_f16 v5, v27, v5, -v2
	global_load_dwordx3 v[2:4], v35, s[12:13] offset:48
	v_sub_f16_e32 v35, v32, v42
	v_sub_f16_e32 v28, v37, v44
	;; [unrolled: 1-line block ×3, first 2 shown]
	v_fma_f16 v33, v33, 2.0, -v42
	s_waitcnt vmcnt(0) lgkmcnt(0)
	s_barrier
	v_mul_f16_sdwa v27, v26, v2 dst_sel:DWORD dst_unused:UNUSED_PAD src0_sel:DWORD src1_sel:WORD_1
	v_fma_f16 v27, v22, v2, v27
	v_mul_f16_sdwa v22, v22, v2 dst_sel:DWORD dst_unused:UNUSED_PAD src0_sel:DWORD src1_sel:WORD_1
	v_fma_f16 v22, v26, v2, -v22
	v_mul_f16_sdwa v2, v25, v3 dst_sel:DWORD dst_unused:UNUSED_PAD src0_sel:DWORD src1_sel:WORD_1
	v_fma_f16 v26, v20, v3, v2
	v_mul_f16_sdwa v2, v20, v3 dst_sel:DWORD dst_unused:UNUSED_PAD src0_sel:DWORD src1_sel:WORD_1
	v_fma_f16 v20, v25, v3, -v2
	v_mul_f16_sdwa v2, v24, v4 dst_sel:DWORD dst_unused:UNUSED_PAD src0_sel:DWORD src1_sel:WORD_1
	v_fma_f16 v25, v19, v4, v2
	v_mul_f16_sdwa v2, v19, v4 dst_sel:DWORD dst_unused:UNUSED_PAD src0_sel:DWORD src1_sel:WORD_1
	v_fma_f16 v3, v32, 2.0, -v35
	v_sub_f16_e32 v26, v39, v26
	v_sub_f16_e32 v32, v30, v20
	;; [unrolled: 1-line block ×3, first 2 shown]
	v_fma_f16 v19, v24, v4, -v2
	v_sub_f16_e32 v4, v0, v5
	v_fma_f16 v5, v37, 2.0, -v28
	v_fma_f16 v20, v39, 2.0, -v26
	;; [unrolled: 1-line block ×3, first 2 shown]
	v_sub_f16_e32 v30, v36, v45
	v_sub_f16_e32 v37, v31, v43
	;; [unrolled: 1-line block ×3, first 2 shown]
	v_fma_f16 v22, v34, 2.0, -v27
	v_sub_f16_e32 v34, v38, v14
	v_sub_f16_e32 v25, v40, v25
	v_fma_f16 v36, v36, 2.0, -v30
	v_fma_f16 v31, v31, 2.0, -v37
	;; [unrolled: 1-line block ×5, first 2 shown]
	v_sub_f16_e32 v19, v41, v19
	v_sub_f16_e32 v43, v36, v22
	;; [unrolled: 1-line block ×6, first 2 shown]
	v_fma_f16 v41, v41, 2.0, -v19
	v_fma_f16 v14, v36, 2.0, -v43
	;; [unrolled: 1-line block ×3, first 2 shown]
	v_add_f16_e32 v31, v30, v39
	v_fma_f16 v37, v37, 2.0, -v44
	v_fma_f16 v27, v38, 2.0, -v40
	v_add_f16_e32 v19, v34, v19
	v_fma_f16 v42, v42, 2.0, -v45
	v_add_f16_e32 v32, v28, v32
	v_sub_f16_e32 v26, v35, v26
	v_fma_f16 v39, v30, 2.0, -v31
	v_fma_f16 v46, v34, 2.0, -v19
	v_sub_f16_e32 v25, v14, v27
	v_fma_f16 v27, v42, s3, v37
	v_fma_f16 v28, v28, 2.0, -v32
	v_fma_f16 v35, v35, 2.0, -v26
	v_sub_f16_e32 v41, v33, v41
	v_mul_f16_e32 v34, 0x39a8, v26
	v_fma_f16 v26, v46, s3, v39
	v_fma_f16 v27, v46, s3, v27
	v_sub_f16_e32 v46, v29, v40
	v_mul_f16_e32 v36, 0x39a8, v28
	v_mul_f16_e32 v38, 0x39a8, v35
	v_fma_f16 v26, v42, s2, v26
	v_add_f16_e32 v35, v43, v41
	v_fma_f16 v42, v29, 2.0, -v46
	v_fma_f16 v28, v19, s2, v31
	v_fma_f16 v29, v45, s2, v44
	v_fma_f16 v33, v33, 2.0, -v41
	v_fma_f16 v41, v43, 2.0, -v35
	v_fma_f16 v28, v45, s2, v28
	v_fma_f16 v29, v19, s3, v29
	v_sub_f16_e32 v2, v1, v47
	v_sub_f16_e32 v20, v5, v20
	;; [unrolled: 1-line block ×3, first 2 shown]
	v_mul_f16_e32 v30, 0x39a8, v32
	v_sub_f16_e32 v32, v22, v33
	v_fma_f16 v33, v39, 2.0, -v26
	v_fma_f16 v37, v37, 2.0, -v27
	;; [unrolled: 1-line block ×4, first 2 shown]
	v_mul_f16_e32 v41, 0x39a8, v41
	v_mul_f16_e32 v42, 0x39a8, v42
	;; [unrolled: 1-line block ×4, first 2 shown]
	s_and_saveexec_b64 s[2:3], s[0:1]
	s_cbranch_execz .LBB0_23
; %bb.22:
	v_mul_f16_sdwa v19, v13, v6 dst_sel:DWORD dst_unused:UNUSED_PAD src0_sel:DWORD src1_sel:WORD_1
	v_fma_f16 v19, v16, v6, v19
	v_sub_f16_e32 v19, v17, v19
	v_add_f16_e32 v43, v19, v4
	v_add_f16_e32 v44, v43, v30
	v_fma_f16 v17, v17, 2.0, -v19
	v_fma_f16 v1, v1, 2.0, -v2
	v_add_f16_e32 v44, v34, v44
	v_sub_f16_e32 v1, v17, v1
	v_fma_f16 v45, v43, 2.0, -v44
	v_fma_f16 v43, v19, 2.0, -v43
	v_add_f16_e32 v19, v1, v24
	v_sub_f16_e32 v47, v43, v36
	v_fma_f16 v52, v1, 2.0, -v19
	v_fma_f16 v1, v17, 2.0, -v1
	v_fma_f16 v5, v5, 2.0, -v20
	s_mov_b32 s6, 0xb61f
	v_add_f16_e32 v47, v38, v47
	s_movk_i32 s7, 0x361f
	v_add_f16_e32 v50, v19, v31
	v_sub_f16_e32 v5, v1, v5
	v_fma_f16 v46, v39, s6, v45
	s_movk_i32 s6, 0x3b64
	v_fma_f16 v48, v26, s7, v47
	v_add_f16_e32 v50, v35, v50
	v_add_f16_e32 v17, v5, v32
	v_fma_f16 v46, v40, s6, v46
	v_fma_f16 v48, v27, s6, v48
	v_fma_f16 v49, v28, s6, v44
	v_fma_f16 v54, v5, 2.0, -v17
	v_fma_f16 v43, v43, 2.0, -v47
	s_mov_b32 s6, 0xbb64
	v_fma_f16 v1, v1, 2.0, -v5
	v_fma_f16 v5, v14, 2.0, -v25
	;; [unrolled: 1-line block ×3, first 2 shown]
	v_mul_u32_u24_e32 v19, 0xd0, v21
	v_fma_f16 v51, v47, 2.0, -v48
	v_sub_f16_e32 v53, v52, v41
	v_fma_f16 v47, v33, s6, v43
	v_sub_f16_e32 v5, v1, v5
	v_or_b32_sdwa v19, v19, v23 dst_sel:DWORD dst_unused:UNUSED_PAD src0_sel:DWORD src1_sel:BYTE_0
	v_fma_f16 v49, v29, s7, v49
	v_add_f16_e32 v53, v42, v53
	v_fma_f16 v47, v37, s7, v47
	v_fma_f16 v1, v1, 2.0, -v5
	v_lshl_add_u32 v19, v19, 1, 0
	v_fma_f16 v44, v44, 2.0, -v49
	v_fma_f16 v45, v45, 2.0, -v46
	v_fma_f16 v52, v52, 2.0, -v53
	v_fma_f16 v43, v43, 2.0, -v47
	ds_write_b16 v19, v1
	ds_write_b16 v19, v43 offset:26
	ds_write_b16 v19, v52 offset:52
	;; [unrolled: 1-line block ×15, first 2 shown]
.LBB0_23:
	s_or_b64 exec, exec, s[2:3]
	s_waitcnt lgkmcnt(0)
	s_barrier
	ds_read_u16 v1, v15
	ds_read_u16 v17, v15 offset:416
	ds_read_u16 v5, v15 offset:832
	ds_read_u16 v14, v15 offset:1248
	ds_read_u16 v19, v15 offset:1664
	s_waitcnt lgkmcnt(0)
	s_barrier
	s_and_saveexec_b64 s[2:3], s[0:1]
	s_cbranch_execz .LBB0_25
; %bb.24:
	v_mul_f16_sdwa v16, v16, v6 dst_sel:DWORD dst_unused:UNUSED_PAD src0_sel:DWORD src1_sel:WORD_1
	v_fma_f16 v6, v13, v6, -v16
	v_sub_f16_e32 v6, v18, v6
	v_fma_f16 v13, v18, 2.0, -v6
	v_fma_f16 v0, v0, 2.0, -v4
	v_sub_f16_e32 v2, v6, v2
	v_sub_f16_e32 v0, v13, v0
	v_fma_f16 v6, v6, 2.0, -v2
	v_add_f16_e32 v18, v2, v34
	v_fma_f16 v4, v13, 2.0, -v0
	v_sub_f16_e32 v13, v6, v38
	v_sub_f16_e32 v18, v18, v30
	v_fma_f16 v3, v3, 2.0, -v24
	v_sub_f16_e32 v13, v13, v36
	v_fma_f16 v2, v2, 2.0, -v18
	s_mov_b32 s1, 0xb61f
	s_movk_i32 s6, 0x361f
	v_sub_f16_e32 v3, v4, v3
	v_fma_f16 v6, v6, 2.0, -v13
	v_sub_f16_e32 v16, v0, v20
	s_mov_b32 s0, 0xbb64
	v_fma_f16 v30, v40, s1, v2
	v_fma_f16 v27, v27, s6, v13
	v_fma_f16 v4, v4, 2.0, -v3
	v_fma_f16 v0, v0, 2.0, -v16
	;; [unrolled: 1-line block ×3, first 2 shown]
	v_fma_f16 v22, v37, s0, v6
	v_fma_f16 v30, v39, s0, v30
	;; [unrolled: 1-line block ×3, first 2 shown]
	s_movk_i32 s0, 0x3b64
	v_mul_u32_u24_e32 v21, 0xd0, v21
	v_sub_f16_e32 v20, v4, v20
	v_sub_f16_e32 v24, v0, v42
	v_add_f16_e32 v27, v16, v35
	v_fma_f16 v29, v29, s0, v18
	v_or_b32_sdwa v21, v21, v23 dst_sel:DWORD dst_unused:UNUSED_PAD src0_sel:DWORD src1_sel:BYTE_0
	v_fma_f16 v4, v4, 2.0, -v20
	v_fma_f16 v22, v33, s1, v22
	v_sub_f16_e32 v24, v24, v41
	v_sub_f16_e32 v25, v3, v25
	v_sub_f16_e32 v27, v27, v31
	v_fma_f16 v28, v28, s1, v29
	v_lshl_add_u32 v21, v21, 1, 0
	v_fma_f16 v6, v6, 2.0, -v22
	v_fma_f16 v0, v0, 2.0, -v24
	;; [unrolled: 1-line block ×7, first 2 shown]
	ds_write_b16 v21, v4
	ds_write_b16 v21, v6 offset:26
	ds_write_b16 v21, v0 offset:52
	ds_write_b16 v21, v2 offset:78
	ds_write_b16 v21, v3 offset:104
	ds_write_b16 v21, v13 offset:130
	ds_write_b16 v21, v16 offset:156
	ds_write_b16 v21, v18 offset:182
	ds_write_b16 v21, v20 offset:208
	ds_write_b16 v21, v22 offset:234
	ds_write_b16 v21, v24 offset:260
	ds_write_b16 v21, v30 offset:286
	ds_write_b16 v21, v25 offset:312
	ds_write_b16 v21, v26 offset:338
	ds_write_b16 v21, v27 offset:364
	ds_write_b16 v21, v28 offset:390
.LBB0_25:
	s_or_b64 exec, exec, s[2:3]
	s_waitcnt lgkmcnt(0)
	s_barrier
	s_and_saveexec_b64 s[0:1], vcc
	s_cbranch_execz .LBB0_27
; %bb.26:
	v_lshlrev_b32_e32 v2, 2, v11
	v_mov_b32_e32 v3, 0
	v_lshlrev_b64 v[20:21], 2, v[2:3]
	v_mov_b32_e32 v0, s13
	v_add_co_u32_e32 v20, vcc, s12, v20
	v_addc_co_u32_e32 v21, vcc, v0, v21, vcc
	global_load_dwordx4 v[20:23], v[20:21], off offset:780
	v_mul_lo_u32 v0, s5, v9
	v_mul_lo_u32 v2, s4, v10
	v_mad_u64_u32 v[9:10], s[0:1], s4, v9, 0
	ds_read_u16 v4, v15 offset:832
	ds_read_u16 v6, v15 offset:1664
	;; [unrolled: 1-line block ×4, first 2 shown]
	ds_read_u16 v15, v15
	s_mov_b32 s0, 0xbb9c
	v_add3_u32 v10, v10, v2, v0
	s_movk_i32 s3, 0x3b9c
	s_mov_b32 s1, 0xb8b4
	s_movk_i32 s4, 0x38b4
	s_movk_i32 s2, 0x34f2
	s_waitcnt vmcnt(0)
	v_mul_f16_sdwa v0, v17, v20 dst_sel:DWORD dst_unused:UNUSED_PAD src0_sel:DWORD src1_sel:WORD_1
	v_mul_f16_sdwa v2, v5, v21 dst_sel:DWORD dst_unused:UNUSED_PAD src0_sel:DWORD src1_sel:WORD_1
	;; [unrolled: 1-line block ×4, first 2 shown]
	s_waitcnt lgkmcnt(1)
	v_mul_f16_sdwa v24, v13, v20 dst_sel:DWORD dst_unused:UNUSED_PAD src0_sel:DWORD src1_sel:WORD_1
	v_mul_f16_sdwa v26, v4, v21 dst_sel:DWORD dst_unused:UNUSED_PAD src0_sel:DWORD src1_sel:WORD_1
	v_fma_f16 v0, v13, v20, -v0
	v_fma_f16 v2, v4, v21, -v2
	;; [unrolled: 1-line block ×3, first 2 shown]
	v_mul_f16_sdwa v25, v6, v23 dst_sel:DWORD dst_unused:UNUSED_PAD src0_sel:DWORD src1_sel:WORD_1
	v_mul_f16_sdwa v27, v11, v22 dst_sel:DWORD dst_unused:UNUSED_PAD src0_sel:DWORD src1_sel:WORD_1
	v_fma_f16 v6, v11, v22, -v18
	v_fma_f16 v11, v17, v20, v24
	v_fma_f16 v5, v5, v21, v26
	v_sub_f16_e32 v16, v0, v2
	v_sub_f16_e32 v24, v0, v4
	;; [unrolled: 1-line block ×3, first 2 shown]
	v_add_f16_e32 v28, v0, v4
	s_waitcnt lgkmcnt(0)
	v_add_f16_e32 v0, v0, v15
	v_add_f16_e32 v0, v2, v0
	;; [unrolled: 1-line block ×3, first 2 shown]
	v_fma_f16 v14, v14, v22, v27
	v_sub_f16_e32 v17, v4, v6
	v_sub_f16_e32 v27, v6, v4
	v_add_f16_e32 v4, v4, v0
	v_add_f16_e32 v0, v1, v11
	v_fma_f16 v13, v19, v23, v25
	v_add_f16_e32 v0, v0, v5
	v_add_f16_e32 v18, v2, v6
	v_sub_f16_e32 v21, v11, v5
	v_sub_f16_e32 v22, v13, v14
	v_add_f16_e32 v23, v5, v14
	v_add_f16_e32 v31, v11, v13
	;; [unrolled: 1-line block ×3, first 2 shown]
	v_sub_f16_e32 v20, v5, v14
	v_sub_f16_e32 v29, v5, v11
	v_add_f16_e32 v16, v16, v17
	v_fma_f16 v17, v18, -0.5, v15
	v_add_f16_e32 v18, v21, v22
	v_fma_f16 v21, v23, -0.5, v1
	;; [unrolled: 2-line block ×3, first 2 shown]
	v_add_f16_e32 v5, v13, v0
	v_lshlrev_b64 v[0:1], 2, v[9:10]
	v_sub_f16_e32 v19, v11, v13
	v_sub_f16_e32 v30, v14, v13
	v_mov_b32_e32 v13, v3
	v_mov_b32_e32 v3, s11
	v_add_co_u32_e32 v9, vcc, s10, v0
	v_addc_co_u32_e32 v3, vcc, v3, v1, vcc
	v_lshlrev_b64 v[0:1], 2, v[7:8]
	v_sub_f16_e32 v25, v2, v6
	v_add_co_u32_e32 v7, vcc, v9, v0
	v_addc_co_u32_e32 v3, vcc, v3, v1, vcc
	v_lshlrev_b64 v[0:1], 2, v[12:13]
	v_fma_f16 v15, v28, -0.5, v15
	v_fma_f16 v2, v19, s0, v17
	v_fma_f16 v27, v24, s3, v21
	;; [unrolled: 1-line block ×4, first 2 shown]
	v_add_f16_e32 v23, v29, v30
	v_fma_f16 v28, v20, s3, v15
	v_fma_f16 v29, v25, s0, v26
	;; [unrolled: 1-line block ×7, first 2 shown]
	v_add_co_u32_e32 v0, vcc, v7, v0
	v_fma_f16 v6, v25, s4, v27
	v_fma_f16 v27, v19, s1, v28
	;; [unrolled: 1-line block ×7, first 2 shown]
	v_addc_co_u32_e32 v1, vcc, v3, v1, vcc
	v_pack_b32_f16 v3, v5, v4
	v_fma_f16 v28, v24, s4, v29
	v_fma_f16 v15, v22, s2, v15
	;; [unrolled: 1-line block ×3, first 2 shown]
	global_store_dword v[0:1], v3, off
	v_pack_b32_f16 v3, v17, v16
	v_fma_f16 v6, v18, s2, v6
	v_fma_f16 v21, v22, s2, v27
	;; [unrolled: 1-line block ×3, first 2 shown]
	global_store_dword v[0:1], v3, off offset:832
	v_pack_b32_f16 v3, v19, v15
	global_store_dword v[0:1], v3, off offset:1664
	v_pack_b32_f16 v3, v24, v21
	v_pack_b32_f16 v2, v6, v2
	global_store_dword v[0:1], v3, off offset:2496
	global_store_dword v[0:1], v2, off offset:3328
.LBB0_27:
	s_endpgm
	.section	.rodata,"a",@progbits
	.p2align	6, 0x0
	.amdhsa_kernel fft_rtc_back_len1040_factors_13_16_5_wgs_208_tpt_208_halfLds_half_op_CI_CI_unitstride_sbrr_dirReg
		.amdhsa_group_segment_fixed_size 0
		.amdhsa_private_segment_fixed_size 0
		.amdhsa_kernarg_size 104
		.amdhsa_user_sgpr_count 6
		.amdhsa_user_sgpr_private_segment_buffer 1
		.amdhsa_user_sgpr_dispatch_ptr 0
		.amdhsa_user_sgpr_queue_ptr 0
		.amdhsa_user_sgpr_kernarg_segment_ptr 1
		.amdhsa_user_sgpr_dispatch_id 0
		.amdhsa_user_sgpr_flat_scratch_init 0
		.amdhsa_user_sgpr_private_segment_size 0
		.amdhsa_uses_dynamic_stack 0
		.amdhsa_system_sgpr_private_segment_wavefront_offset 0
		.amdhsa_system_sgpr_workgroup_id_x 1
		.amdhsa_system_sgpr_workgroup_id_y 0
		.amdhsa_system_sgpr_workgroup_id_z 0
		.amdhsa_system_sgpr_workgroup_info 0
		.amdhsa_system_vgpr_workitem_id 0
		.amdhsa_next_free_vgpr 60
		.amdhsa_next_free_sgpr 28
		.amdhsa_reserve_vcc 1
		.amdhsa_reserve_flat_scratch 0
		.amdhsa_float_round_mode_32 0
		.amdhsa_float_round_mode_16_64 0
		.amdhsa_float_denorm_mode_32 3
		.amdhsa_float_denorm_mode_16_64 3
		.amdhsa_dx10_clamp 1
		.amdhsa_ieee_mode 1
		.amdhsa_fp16_overflow 0
		.amdhsa_exception_fp_ieee_invalid_op 0
		.amdhsa_exception_fp_denorm_src 0
		.amdhsa_exception_fp_ieee_div_zero 0
		.amdhsa_exception_fp_ieee_overflow 0
		.amdhsa_exception_fp_ieee_underflow 0
		.amdhsa_exception_fp_ieee_inexact 0
		.amdhsa_exception_int_div_zero 0
	.end_amdhsa_kernel
	.text
.Lfunc_end0:
	.size	fft_rtc_back_len1040_factors_13_16_5_wgs_208_tpt_208_halfLds_half_op_CI_CI_unitstride_sbrr_dirReg, .Lfunc_end0-fft_rtc_back_len1040_factors_13_16_5_wgs_208_tpt_208_halfLds_half_op_CI_CI_unitstride_sbrr_dirReg
                                        ; -- End function
	.section	.AMDGPU.csdata,"",@progbits
; Kernel info:
; codeLenInByte = 7180
; NumSgprs: 32
; NumVgprs: 60
; ScratchSize: 0
; MemoryBound: 0
; FloatMode: 240
; IeeeMode: 1
; LDSByteSize: 0 bytes/workgroup (compile time only)
; SGPRBlocks: 3
; VGPRBlocks: 14
; NumSGPRsForWavesPerEU: 32
; NumVGPRsForWavesPerEU: 60
; Occupancy: 4
; WaveLimiterHint : 1
; COMPUTE_PGM_RSRC2:SCRATCH_EN: 0
; COMPUTE_PGM_RSRC2:USER_SGPR: 6
; COMPUTE_PGM_RSRC2:TRAP_HANDLER: 0
; COMPUTE_PGM_RSRC2:TGID_X_EN: 1
; COMPUTE_PGM_RSRC2:TGID_Y_EN: 0
; COMPUTE_PGM_RSRC2:TGID_Z_EN: 0
; COMPUTE_PGM_RSRC2:TIDIG_COMP_CNT: 0
	.type	__hip_cuid_1863b5654323c995,@object ; @__hip_cuid_1863b5654323c995
	.section	.bss,"aw",@nobits
	.globl	__hip_cuid_1863b5654323c995
__hip_cuid_1863b5654323c995:
	.byte	0                               ; 0x0
	.size	__hip_cuid_1863b5654323c995, 1

	.ident	"AMD clang version 19.0.0git (https://github.com/RadeonOpenCompute/llvm-project roc-6.4.0 25133 c7fe45cf4b819c5991fe208aaa96edf142730f1d)"
	.section	".note.GNU-stack","",@progbits
	.addrsig
	.addrsig_sym __hip_cuid_1863b5654323c995
	.amdgpu_metadata
---
amdhsa.kernels:
  - .args:
      - .actual_access:  read_only
        .address_space:  global
        .offset:         0
        .size:           8
        .value_kind:     global_buffer
      - .offset:         8
        .size:           8
        .value_kind:     by_value
      - .actual_access:  read_only
        .address_space:  global
        .offset:         16
        .size:           8
        .value_kind:     global_buffer
      - .actual_access:  read_only
        .address_space:  global
        .offset:         24
        .size:           8
        .value_kind:     global_buffer
      - .actual_access:  read_only
        .address_space:  global
        .offset:         32
        .size:           8
        .value_kind:     global_buffer
      - .offset:         40
        .size:           8
        .value_kind:     by_value
      - .actual_access:  read_only
        .address_space:  global
        .offset:         48
        .size:           8
        .value_kind:     global_buffer
      - .actual_access:  read_only
        .address_space:  global
        .offset:         56
        .size:           8
        .value_kind:     global_buffer
      - .offset:         64
        .size:           4
        .value_kind:     by_value
      - .actual_access:  read_only
        .address_space:  global
        .offset:         72
        .size:           8
        .value_kind:     global_buffer
      - .actual_access:  read_only
        .address_space:  global
        .offset:         80
        .size:           8
        .value_kind:     global_buffer
      - .actual_access:  read_only
        .address_space:  global
        .offset:         88
        .size:           8
        .value_kind:     global_buffer
      - .actual_access:  write_only
        .address_space:  global
        .offset:         96
        .size:           8
        .value_kind:     global_buffer
    .group_segment_fixed_size: 0
    .kernarg_segment_align: 8
    .kernarg_segment_size: 104
    .language:       OpenCL C
    .language_version:
      - 2
      - 0
    .max_flat_workgroup_size: 208
    .name:           fft_rtc_back_len1040_factors_13_16_5_wgs_208_tpt_208_halfLds_half_op_CI_CI_unitstride_sbrr_dirReg
    .private_segment_fixed_size: 0
    .sgpr_count:     32
    .sgpr_spill_count: 0
    .symbol:         fft_rtc_back_len1040_factors_13_16_5_wgs_208_tpt_208_halfLds_half_op_CI_CI_unitstride_sbrr_dirReg.kd
    .uniform_work_group_size: 1
    .uses_dynamic_stack: false
    .vgpr_count:     60
    .vgpr_spill_count: 0
    .wavefront_size: 64
amdhsa.target:   amdgcn-amd-amdhsa--gfx906
amdhsa.version:
  - 1
  - 2
...

	.end_amdgpu_metadata
